;; amdgpu-corpus repo=zjin-lcf/HeCBench kind=compiled arch=gfx942 opt=O3
	.text
	.amdgcn_target "amdgcn-amd-amdhsa--gfx942"
	.amdhsa_code_object_version 6
	.protected	_Z9hotspot3dPKfS0_Pfiiiffffffff ; -- Begin function _Z9hotspot3dPKfS0_Pfiiiffffffff
	.globl	_Z9hotspot3dPKfS0_Pfiiiffffffff
	.p2align	8
	.type	_Z9hotspot3dPKfS0_Pfiiiffffffff,@function
_Z9hotspot3dPKfS0_Pfiiiffffffff:        ; @_Z9hotspot3dPKfS0_Pfiiiffffffff
; %bb.0:
	s_load_dword s18, s[0:1], 0x54
	s_load_dwordx4 s[12:15], s[0:1], 0x0
	s_load_dwordx2 s[16:17], s[0:1], 0x10
	s_load_dwordx8 s[4:11], s[0:1], 0x18
	v_and_b32_e32 v1, 0x3ff, v0
	s_waitcnt lgkmcnt(0)
	s_lshr_b32 s19, s18, 16
	s_and_b32 s18, s18, 0xffff
	s_mul_i32 s3, s3, s19
	v_bfe_u32 v0, v0, 10, 10
	s_mul_i32 s2, s2, s18
	v_add_u32_e32 v0, s3, v0
	v_add_u32_e32 v1, s2, v1
	v_mul_lo_u32 v3, v0, s4
	v_add_u32_e32 v2, v3, v1
	v_add_u32_e32 v4, -1, v2
	v_cmp_eq_u32_e32 vcc, 0, v1
	s_add_i32 s2, s4, -1
	s_mul_i32 s18, s5, s4
	v_cndmask_b32_e32 v10, v4, v3, vcc
	v_cmp_ne_u32_e32 vcc, s2, v1
	v_subrev_u32_e32 v3, s4, v2
	v_cmp_eq_u32_e64 s[2:3], 0, v0
	v_cndmask_b32_e64 v5, 0, 1, vcc
	s_ashr_i32 s19, s18, 31
	v_cndmask_b32_e64 v12, v3, v1, s[2:3]
	s_add_i32 s2, s5, -1
	v_ashrrev_i32_e32 v3, 31, v2
	v_mov_b32_e32 v1, s4
	v_cmp_ne_u32_e64 s[2:3], s2, v0
	v_lshlrev_b64 v[16:17], 2, v[2:3]
	v_ashrrev_i32_e32 v11, 31, v10
	v_cndmask_b32_e64 v4, 0, v1, s[2:3]
	v_lshl_add_u64 v[0:1], s[12:13], 0, v[16:17]
	v_lshlrev_b32_e32 v14, 2, v5
	v_mov_b32_e32 v15, 0
	v_lshl_add_u64 v[6:7], s[18:19], 2, v[0:1]
	v_lshl_add_u64 v[8:9], v[10:11], 2, s[12:13]
	;; [unrolled: 1-line block ×3, first 2 shown]
	global_load_dword v14, v[0:1], off
	global_load_dword v11, v[6:7], off
	;; [unrolled: 1-line block ×3, first 2 shown]
	v_ashrrev_i32_e32 v5, 31, v4
	v_ashrrev_i32_e32 v13, 31, v12
	v_lshl_add_u64 v[0:1], v[4:5], 2, v[0:1]
	v_lshl_add_u64 v[6:7], v[12:13], 2, s[12:13]
	global_load_dword v5, v[18:19], off
	global_load_dword v13, v[0:1], off
	;; [unrolled: 1-line block ×3, first 2 shown]
	v_lshl_add_u64 v[0:1], s[14:15], 0, v[16:17]
	global_load_dword v1, v[0:1], off
	s_load_dwordx4 s[0:3], s[0:1], 0x38
	s_mov_b32 s21, s11
	v_mov_b32_e32 v7, 0x42a00000
	v_mov_b32_e32 v6, s18
	v_add_u32_e32 v8, s18, v2
	s_waitcnt lgkmcnt(0)
	s_mov_b32 s20, s0
	v_mul_f32_e32 v0, s11, v7
	s_cmp_lt_i32 s6, 3
	v_addc_co_u32_e32 v6, vcc, v2, v6, vcc
	v_ashrrev_i32_e32 v9, 31, v8
	v_add_u32_e32 v4, v8, v4
	v_lshl_add_u64 v[16:17], s[16:17], 0, v[16:17]
	v_add_u32_e32 v2, s18, v12
	v_add_u32_e32 v12, s18, v10
	s_waitcnt vmcnt(5)
	v_mov_b32_e32 v15, v11
	s_waitcnt vmcnt(4)
	v_mul_f32_e32 v3, s8, v3
	v_fmac_f32_e32 v3, s1, v14
	v_pk_mul_f32 v[18:19], v[14:15], s[20:21]
	s_waitcnt vmcnt(3)
	v_fmac_f32_e32 v3, s7, v5
	s_waitcnt vmcnt(2)
	v_fmac_f32_e32 v3, s10, v13
	;; [unrolled: 2-line block ×3, first 2 shown]
	v_add_f32_e32 v3, v18, v3
	v_add_f32_e32 v3, v19, v3
	s_waitcnt vmcnt(0)
	v_fmac_f32_e32 v3, s2, v1
	v_fmac_f32_e32 v3, s11, v7
	global_store_dword v[16:17], v3, off
	s_cbranch_scc1 .LBB0_12
; %bb.1:
	s_add_i32 s33, s6, -2
	s_cmp_gt_u32 s33, 1
	s_mov_b32 s3, 1
	s_cbranch_scc0 .LBB0_6
; %bb.2:
	s_and_b32 s34, s33, -2
	v_add_u32_e32 v13, s18, v12
	s_lshl_b32 s37, s18, 1
	v_add_u32_e32 v7, s18, v6
	v_add_u32_e32 v3, s18, v2
	;; [unrolled: 1-line block ×4, first 2 shown]
	s_mov_b32 s4, s0
	s_mov_b32 s35, s18
	;; [unrolled: 1-line block ×18, first 2 shown]
	v_mov_b32_e32 v1, v0
	s_mov_b32 s39, s34
	v_mov_b64_e32 v[18:19], v[12:13]
	v_mov_b64_e32 v[20:21], v[6:7]
	;; [unrolled: 1-line block ×5, first 2 shown]
.LBB0_3:                                ; =>This Inner Loop Header: Depth=1
	v_add_u32_e32 v10, s35, v26
	v_mov_b32_e32 v28, v11
	v_add_u32_e32 v16, s36, v27
	v_ashrrev_i32_e32 v45, 31, v22
	v_mov_b32_e32 v44, v22
	v_ashrrev_i32_e32 v11, 31, v10
	v_ashrrev_i32_e32 v31, 31, v19
	v_mov_b32_e32 v30, v19
	v_ashrrev_i32_e32 v33, 31, v18
	v_mov_b32_e32 v32, v18
	;; [unrolled: 2-line block ×7, first 2 shown]
	v_ashrrev_i32_e32 v17, 31, v16
	v_lshl_add_u64 v[44:45], v[44:45], 2, s[12:13]
	v_lshl_add_u64 v[50:51], v[10:11], 2, s[12:13]
	;; [unrolled: 1-line block ×10, first 2 shown]
	global_load_dword v54, v[44:45], off
	global_load_dword v55, v[42:43], off
	;; [unrolled: 1-line block ×4, first 2 shown]
	s_nop 0
	global_load_dword v44, v[32:33], off
	global_load_dword v45, v[30:31], off
	;; [unrolled: 1-line block ×6, first 2 shown]
	v_ashrrev_i32_e32 v49, 31, v26
	v_mov_b32_e32 v48, v26
	v_ashrrev_i32_e32 v47, 31, v27
	v_mov_b32_e32 v46, v27
	v_lshlrev_b64 v[48:49], 2, v[48:49]
	v_lshlrev_b64 v[46:47], 2, v[46:47]
	v_lshl_add_u64 v[42:43], s[14:15], 0, v[48:49]
	v_lshl_add_u64 v[30:31], s[14:15], 0, v[46:47]
	global_load_dword v32, v[42:43], off
	global_load_dword v33, v[30:31], off
	v_mov_b32_e32 v15, v28
	s_add_i32 s39, s39, -2
	v_add_u32_e32 v19, s38, v19
	v_add_u32_e32 v18, s37, v18
	;; [unrolled: 1-line block ×10, first 2 shown]
	s_cmp_lg_u32 s39, 0
	v_lshl_add_u64 v[30:31], s[16:17], 0, v[48:49]
	v_lshl_add_u64 v[34:35], s[16:17], 0, v[46:47]
	s_waitcnt vmcnt(9)
	v_mov_b32_e32 v29, v10
	s_waitcnt vmcnt(6)
	v_pk_mul_f32 v[36:37], v[44:45], s[24:25]
	s_nop 0
	v_pk_fma_f32 v[28:29], v[28:29], s[20:21], v[36:37]
	s_waitcnt vmcnt(4)
	v_pk_fma_f32 v[28:29], v[56:57], s[26:27], v[28:29]
	s_waitcnt vmcnt(2)
	v_pk_fma_f32 v[28:29], v[58:59], s[28:29], v[28:29]
	s_nop 0
	v_pk_fma_f32 v[28:29], v[54:55], s[30:31], v[28:29]
	s_nop 0
	v_pk_fma_f32 v[28:29], v[14:15], s[4:5], v[28:29]
	v_mov_b32_e32 v14, v10
	v_pk_fma_f32 v[28:29], v[10:11], s[22:23], v[28:29]
	s_waitcnt vmcnt(0)
	v_pk_fma_f32 v[28:29], v[32:33], s[2:3], v[28:29]
	s_nop 0
	v_pk_add_f32 v[28:29], v[0:1], v[28:29]
	global_store_dword v[30:31], v28, off
	global_store_dword v[34:35], v29, off
	s_cbranch_scc1 .LBB0_3
; %bb.4:
	s_mul_i32 s4, s34, s18
	v_add_u32_e32 v12, s4, v12
	v_add_u32_e32 v6, s4, v6
	;; [unrolled: 1-line block ×3, first 2 shown]
	s_cmp_eq_u32 s33, s34
	v_add_u32_e32 v4, s4, v4
	s_cbranch_scc1 .LBB0_7
; %bb.5:
	v_add_u32_e32 v8, s4, v8
	s_or_b32 s3, s33, 1
	v_ashrrev_i32_e32 v9, 31, v8
                                        ; implicit-def: $vgpr19
                                        ; implicit-def: $vgpr16_vgpr17
	v_mov_b32_e32 v14, v10
	s_cbranch_execnz .LBB0_8
	s_branch .LBB0_11
.LBB0_6:
                                        ; implicit-def: $vgpr19
                                        ; implicit-def: $vgpr16_vgpr17
	s_cbranch_execnz .LBB0_8
	s_branch .LBB0_11
.LBB0_7:
	v_pk_mul_f32 v[18:19], v[10:11], s[22:23]
	s_mov_b32 s3, 1
                                        ; implicit-def: $vgpr8_vgpr9
	v_mov_b32_e32 v14, v10
	s_branch .LBB0_11
.LBB0_8:
	v_ashrrev_i32_e32 v13, 31, v12
	v_ashrrev_i32_e32 v7, 31, v6
	;; [unrolled: 1-line block ×4, first 2 shown]
	s_not_b32 s3, s3
	v_lshl_add_u64 v[24:25], v[8:9], 0, s[18:19]
	v_lshlrev_b64 v[28:29], 2, v[8:9]
	v_lshl_add_u64 v[16:17], v[12:13], 2, s[12:13]
	s_lshl_b64 s[4:5], s[18:19], 2
	v_lshl_add_u64 v[18:19], v[6:7], 2, s[12:13]
	v_lshl_add_u64 v[20:21], v[2:3], 2, s[12:13]
	v_lshl_add_u64 v[22:23], v[4:5], 2, s[12:13]
	s_add_i32 s3, s3, s6
	v_lshl_add_u64 v[24:25], v[24:25], 2, s[12:13]
	v_lshl_add_u64 v[26:27], s[14:15], 0, v[28:29]
	;; [unrolled: 1-line block ×3, first 2 shown]
	s_mov_b32 s6, 0
	s_mov_b64 s[20:21], 0
.LBB0_9:                                ; =>This Inner Loop Header: Depth=1
	v_lshl_add_u64 v[32:33], v[16:17], 0, s[20:21]
	v_mov_b32_e32 v10, v11
	v_lshl_add_u64 v[30:31], v[24:25], 0, s[20:21]
	v_lshl_add_u64 v[34:35], v[18:19], 0, s[20:21]
	;; [unrolled: 1-line block ×4, first 2 shown]
	global_load_dword v1, v[32:33], off
	global_load_dword v11, v[30:31], off
	;; [unrolled: 1-line block ×5, first 2 shown]
	v_lshl_add_u64 v[30:31], v[26:27], 0, s[20:21]
	global_load_dword v13, v[30:31], off
	s_add_i32 s6, s6, s18
	v_lshl_add_u64 v[30:31], v[28:29], 0, s[20:21]
	s_add_u32 s20, s20, s4
	s_addc_u32 s21, s21, s5
	s_add_i32 s3, s3, -1
	v_lshl_add_u64 v[8:9], v[8:9], 0, s[18:19]
	s_cmp_eq_u32 s3, 0
	s_waitcnt vmcnt(5)
	v_mul_f32_e32 v1, s8, v1
	v_fmac_f32_e32 v1, s1, v10
	s_waitcnt vmcnt(3)
	v_fmac_f32_e32 v1, s7, v3
	s_waitcnt vmcnt(2)
	;; [unrolled: 2-line block ×3, first 2 shown]
	v_fmac_f32_e32 v1, s9, v7
	v_fmac_f32_e32 v1, s0, v14
	v_fmac_f32_e32 v1, s11, v11
	s_waitcnt vmcnt(0)
	v_fmac_f32_e32 v1, s2, v13
	v_mov_b32_e32 v14, v10
	v_add_f32_e32 v1, v0, v1
	global_store_dword v[30:31], v1, off
	s_cbranch_scc0 .LBB0_9
; %bb.10:
	v_mul_f32_e32 v19, s11, v11
	v_add_u32_e32 v4, s6, v4
	v_add_u32_e32 v2, s6, v2
	;; [unrolled: 1-line block ×4, first 2 shown]
	v_mov_b64_e32 v[16:17], v[8:9]
.LBB0_11:
	v_mul_f32_e32 v18, s0, v10
	v_mov_b64_e32 v[8:9], v[16:17]
.LBB0_12:
	v_ashrrev_i32_e32 v13, 31, v12
	v_lshl_add_u64 v[12:13], v[12:13], 2, s[12:13]
	global_load_dword v1, v[12:13], off
	v_ashrrev_i32_e32 v7, 31, v6
	v_lshl_add_u64 v[6:7], v[6:7], 2, s[12:13]
	v_ashrrev_i32_e32 v5, 31, v4
	v_ashrrev_i32_e32 v3, 31, v2
	v_lshl_add_u64 v[4:5], v[4:5], 2, s[12:13]
	v_lshl_add_u64 v[2:3], v[2:3], 2, s[12:13]
	global_load_dword v10, v[6:7], off
	global_load_dword v12, v[4:5], off
	global_load_dword v13, v[2:3], off
	v_lshlrev_b64 v[2:3], 2, v[8:9]
	v_lshl_add_u64 v[4:5], s[14:15], 0, v[2:3]
	global_load_dword v4, v[4:5], off
	s_waitcnt vmcnt(4)
	v_mul_f32_e32 v1, s8, v1
	v_fmac_f32_e32 v1, s1, v11
	s_waitcnt vmcnt(3)
	v_fmac_f32_e32 v1, s7, v10
	s_waitcnt vmcnt(2)
	v_fmac_f32_e32 v1, s10, v12
	s_waitcnt vmcnt(1)
	v_fmac_f32_e32 v1, s9, v13
	v_add_f32_e32 v1, v18, v1
	v_add_f32_e32 v1, v19, v1
	s_waitcnt vmcnt(0)
	v_fmac_f32_e32 v1, s2, v4
	v_add_f32_e32 v4, v0, v1
	v_lshl_add_u64 v[0:1], s[16:17], 0, v[2:3]
	global_store_dword v[0:1], v4, off
	s_endpgm
	.section	.rodata,"a",@progbits
	.p2align	6, 0x0
	.amdhsa_kernel _Z9hotspot3dPKfS0_Pfiiiffffffff
		.amdhsa_group_segment_fixed_size 0
		.amdhsa_private_segment_fixed_size 0
		.amdhsa_kernarg_size 328
		.amdhsa_user_sgpr_count 2
		.amdhsa_user_sgpr_dispatch_ptr 0
		.amdhsa_user_sgpr_queue_ptr 0
		.amdhsa_user_sgpr_kernarg_segment_ptr 1
		.amdhsa_user_sgpr_dispatch_id 0
		.amdhsa_user_sgpr_kernarg_preload_length 0
		.amdhsa_user_sgpr_kernarg_preload_offset 0
		.amdhsa_user_sgpr_private_segment_size 0
		.amdhsa_uses_dynamic_stack 0
		.amdhsa_enable_private_segment 0
		.amdhsa_system_sgpr_workgroup_id_x 1
		.amdhsa_system_sgpr_workgroup_id_y 1
		.amdhsa_system_sgpr_workgroup_id_z 0
		.amdhsa_system_sgpr_workgroup_info 0
		.amdhsa_system_vgpr_workitem_id 1
		.amdhsa_next_free_vgpr 60
		.amdhsa_next_free_sgpr 40
		.amdhsa_accum_offset 60
		.amdhsa_reserve_vcc 1
		.amdhsa_float_round_mode_32 0
		.amdhsa_float_round_mode_16_64 0
		.amdhsa_float_denorm_mode_32 3
		.amdhsa_float_denorm_mode_16_64 3
		.amdhsa_dx10_clamp 1
		.amdhsa_ieee_mode 1
		.amdhsa_fp16_overflow 0
		.amdhsa_tg_split 0
		.amdhsa_exception_fp_ieee_invalid_op 0
		.amdhsa_exception_fp_denorm_src 0
		.amdhsa_exception_fp_ieee_div_zero 0
		.amdhsa_exception_fp_ieee_overflow 0
		.amdhsa_exception_fp_ieee_underflow 0
		.amdhsa_exception_fp_ieee_inexact 0
		.amdhsa_exception_int_div_zero 0
	.end_amdhsa_kernel
	.text
.Lfunc_end0:
	.size	_Z9hotspot3dPKfS0_Pfiiiffffffff, .Lfunc_end0-_Z9hotspot3dPKfS0_Pfiiiffffffff
                                        ; -- End function
	.section	.AMDGPU.csdata,"",@progbits
; Kernel info:
; codeLenInByte = 1740
; NumSgprs: 46
; NumVgprs: 60
; NumAgprs: 0
; TotalNumVgprs: 60
; ScratchSize: 0
; MemoryBound: 0
; FloatMode: 240
; IeeeMode: 1
; LDSByteSize: 0 bytes/workgroup (compile time only)
; SGPRBlocks: 5
; VGPRBlocks: 7
; NumSGPRsForWavesPerEU: 46
; NumVGPRsForWavesPerEU: 60
; AccumOffset: 60
; Occupancy: 8
; WaveLimiterHint : 0
; COMPUTE_PGM_RSRC2:SCRATCH_EN: 0
; COMPUTE_PGM_RSRC2:USER_SGPR: 2
; COMPUTE_PGM_RSRC2:TRAP_HANDLER: 0
; COMPUTE_PGM_RSRC2:TGID_X_EN: 1
; COMPUTE_PGM_RSRC2:TGID_Y_EN: 1
; COMPUTE_PGM_RSRC2:TGID_Z_EN: 0
; COMPUTE_PGM_RSRC2:TIDIG_COMP_CNT: 1
; COMPUTE_PGM_RSRC3_GFX90A:ACCUM_OFFSET: 14
; COMPUTE_PGM_RSRC3_GFX90A:TG_SPLIT: 0
	.text
	.p2alignl 6, 3212836864
	.fill 256, 4, 3212836864
	.type	__hip_cuid_506f60fd8cbb55b9,@object ; @__hip_cuid_506f60fd8cbb55b9
	.section	.bss,"aw",@nobits
	.globl	__hip_cuid_506f60fd8cbb55b9
__hip_cuid_506f60fd8cbb55b9:
	.byte	0                               ; 0x0
	.size	__hip_cuid_506f60fd8cbb55b9, 1

	.ident	"AMD clang version 19.0.0git (https://github.com/RadeonOpenCompute/llvm-project roc-6.4.0 25133 c7fe45cf4b819c5991fe208aaa96edf142730f1d)"
	.section	".note.GNU-stack","",@progbits
	.addrsig
	.addrsig_sym __hip_cuid_506f60fd8cbb55b9
	.amdgpu_metadata
---
amdhsa.kernels:
  - .agpr_count:     0
    .args:
      - .actual_access:  read_only
        .address_space:  global
        .offset:         0
        .size:           8
        .value_kind:     global_buffer
      - .actual_access:  read_only
        .address_space:  global
        .offset:         8
        .size:           8
        .value_kind:     global_buffer
      - .actual_access:  write_only
        .address_space:  global
        .offset:         16
        .size:           8
        .value_kind:     global_buffer
      - .offset:         24
        .size:           4
        .value_kind:     by_value
      - .offset:         28
        .size:           4
        .value_kind:     by_value
      - .offset:         32
        .size:           4
        .value_kind:     by_value
      - .offset:         36
        .size:           4
        .value_kind:     by_value
      - .offset:         40
        .size:           4
        .value_kind:     by_value
      - .offset:         44
        .size:           4
        .value_kind:     by_value
      - .offset:         48
        .size:           4
        .value_kind:     by_value
      - .offset:         52
        .size:           4
        .value_kind:     by_value
      - .offset:         56
        .size:           4
        .value_kind:     by_value
      - .offset:         60
        .size:           4
        .value_kind:     by_value
      - .offset:         64
        .size:           4
        .value_kind:     by_value
      - .offset:         72
        .size:           4
        .value_kind:     hidden_block_count_x
      - .offset:         76
        .size:           4
        .value_kind:     hidden_block_count_y
      - .offset:         80
        .size:           4
        .value_kind:     hidden_block_count_z
      - .offset:         84
        .size:           2
        .value_kind:     hidden_group_size_x
      - .offset:         86
        .size:           2
        .value_kind:     hidden_group_size_y
      - .offset:         88
        .size:           2
        .value_kind:     hidden_group_size_z
      - .offset:         90
        .size:           2
        .value_kind:     hidden_remainder_x
      - .offset:         92
        .size:           2
        .value_kind:     hidden_remainder_y
      - .offset:         94
        .size:           2
        .value_kind:     hidden_remainder_z
      - .offset:         112
        .size:           8
        .value_kind:     hidden_global_offset_x
      - .offset:         120
        .size:           8
        .value_kind:     hidden_global_offset_y
      - .offset:         128
        .size:           8
        .value_kind:     hidden_global_offset_z
      - .offset:         136
        .size:           2
        .value_kind:     hidden_grid_dims
    .group_segment_fixed_size: 0
    .kernarg_segment_align: 8
    .kernarg_segment_size: 328
    .language:       OpenCL C
    .language_version:
      - 2
      - 0
    .max_flat_workgroup_size: 1024
    .name:           _Z9hotspot3dPKfS0_Pfiiiffffffff
    .private_segment_fixed_size: 0
    .sgpr_count:     46
    .sgpr_spill_count: 0
    .symbol:         _Z9hotspot3dPKfS0_Pfiiiffffffff.kd
    .uniform_work_group_size: 1
    .uses_dynamic_stack: false
    .vgpr_count:     60
    .vgpr_spill_count: 0
    .wavefront_size: 64
amdhsa.target:   amdgcn-amd-amdhsa--gfx942
amdhsa.version:
  - 1
  - 2
...

	.end_amdgpu_metadata
